;; amdgpu-corpus repo=ROCm/rocFFT kind=compiled arch=gfx1201 opt=O3
	.text
	.amdgcn_target "amdgcn-amd-amdhsa--gfx1201"
	.amdhsa_code_object_version 6
	.protected	fft_rtc_back_len110_factors_2_5_11_wgs_198_tpt_11_half_op_CI_CI_unitstride_sbrr_R2C_dirReg ; -- Begin function fft_rtc_back_len110_factors_2_5_11_wgs_198_tpt_11_half_op_CI_CI_unitstride_sbrr_R2C_dirReg
	.globl	fft_rtc_back_len110_factors_2_5_11_wgs_198_tpt_11_half_op_CI_CI_unitstride_sbrr_R2C_dirReg
	.p2align	8
	.type	fft_rtc_back_len110_factors_2_5_11_wgs_198_tpt_11_half_op_CI_CI_unitstride_sbrr_R2C_dirReg,@function
fft_rtc_back_len110_factors_2_5_11_wgs_198_tpt_11_half_op_CI_CI_unitstride_sbrr_R2C_dirReg: ; @fft_rtc_back_len110_factors_2_5_11_wgs_198_tpt_11_half_op_CI_CI_unitstride_sbrr_R2C_dirReg
; %bb.0:
	s_load_b128 s[8:11], s[0:1], 0x0
	v_mul_u32_u24_e32 v1, 0x1746, v0
	s_clause 0x1
	s_load_b128 s[4:7], s[0:1], 0x58
	s_load_b128 s[12:15], s[0:1], 0x18
	v_dual_mov_b32 v7, 0 :: v_dual_mov_b32 v12, 0
	v_mov_b32_e32 v13, 0
	v_lshrrev_b32_e32 v1, 16, v1
	s_delay_alu instid0(VALU_DEP_1) | instskip(NEXT) | instid1(VALU_DEP_4)
	v_mad_co_u64_u32 v[3:4], null, ttmp9, 18, v[1:2]
	v_dual_mov_b32 v4, v7 :: v_dual_mov_b32 v1, v12
	s_delay_alu instid0(VALU_DEP_4) | instskip(NEXT) | instid1(VALU_DEP_2)
	v_mov_b32_e32 v2, v13
	v_dual_mov_b32 v6, v4 :: v_dual_mov_b32 v5, v3
	s_wait_kmcnt 0x0
	v_cmp_lt_u64_e64 s2, s[10:11], 2
	s_delay_alu instid0(VALU_DEP_1)
	s_and_b32 vcc_lo, exec_lo, s2
	s_cbranch_vccnz .LBB0_8
; %bb.1:
	s_load_b64 s[2:3], s[0:1], 0x10
	v_mov_b32_e32 v12, 0
	v_dual_mov_b32 v13, 0 :: v_dual_mov_b32 v10, v4
	v_mov_b32_e32 v9, v3
	s_delay_alu instid0(VALU_DEP_3) | instskip(SKIP_1) | instid1(VALU_DEP_3)
	v_mov_b32_e32 v1, v12
	s_add_nc_u64 s[16:17], s[14:15], 8
	v_mov_b32_e32 v2, v13
	s_add_nc_u64 s[18:19], s[12:13], 8
	s_mov_b64 s[20:21], 1
	s_wait_kmcnt 0x0
	s_add_nc_u64 s[22:23], s[2:3], 8
	s_mov_b32 s3, 0
.LBB0_2:                                ; =>This Inner Loop Header: Depth=1
	s_load_b64 s[24:25], s[22:23], 0x0
                                        ; implicit-def: $vgpr5_vgpr6
	s_mov_b32 s2, exec_lo
	s_wait_kmcnt 0x0
	v_or_b32_e32 v8, s25, v10
	s_delay_alu instid0(VALU_DEP_1)
	v_cmpx_ne_u64_e32 0, v[7:8]
	s_wait_alu 0xfffe
	s_xor_b32 s26, exec_lo, s2
	s_cbranch_execz .LBB0_4
; %bb.3:                                ;   in Loop: Header=BB0_2 Depth=1
	s_cvt_f32_u32 s2, s24
	s_cvt_f32_u32 s27, s25
	s_sub_nc_u64 s[30:31], 0, s[24:25]
	s_wait_alu 0xfffe
	s_delay_alu instid0(SALU_CYCLE_1) | instskip(SKIP_1) | instid1(SALU_CYCLE_2)
	s_fmamk_f32 s2, s27, 0x4f800000, s2
	s_wait_alu 0xfffe
	v_s_rcp_f32 s2, s2
	s_delay_alu instid0(TRANS32_DEP_1) | instskip(SKIP_1) | instid1(SALU_CYCLE_2)
	s_mul_f32 s2, s2, 0x5f7ffffc
	s_wait_alu 0xfffe
	s_mul_f32 s27, s2, 0x2f800000
	s_wait_alu 0xfffe
	s_delay_alu instid0(SALU_CYCLE_2) | instskip(SKIP_1) | instid1(SALU_CYCLE_2)
	s_trunc_f32 s27, s27
	s_wait_alu 0xfffe
	s_fmamk_f32 s2, s27, 0xcf800000, s2
	s_cvt_u32_f32 s29, s27
	s_wait_alu 0xfffe
	s_delay_alu instid0(SALU_CYCLE_1) | instskip(SKIP_1) | instid1(SALU_CYCLE_2)
	s_cvt_u32_f32 s28, s2
	s_wait_alu 0xfffe
	s_mul_u64 s[34:35], s[30:31], s[28:29]
	s_wait_alu 0xfffe
	s_mul_hi_u32 s37, s28, s35
	s_mul_i32 s36, s28, s35
	s_mul_hi_u32 s2, s28, s34
	s_mul_i32 s33, s29, s34
	s_wait_alu 0xfffe
	s_add_nc_u64 s[36:37], s[2:3], s[36:37]
	s_mul_hi_u32 s27, s29, s34
	s_mul_hi_u32 s38, s29, s35
	s_add_co_u32 s2, s36, s33
	s_wait_alu 0xfffe
	s_add_co_ci_u32 s2, s37, s27
	s_mul_i32 s34, s29, s35
	s_add_co_ci_u32 s35, s38, 0
	s_wait_alu 0xfffe
	s_add_nc_u64 s[34:35], s[2:3], s[34:35]
	s_wait_alu 0xfffe
	v_add_co_u32 v4, s2, s28, s34
	s_delay_alu instid0(VALU_DEP_1) | instskip(SKIP_1) | instid1(VALU_DEP_1)
	s_cmp_lg_u32 s2, 0
	s_add_co_ci_u32 s29, s29, s35
	v_readfirstlane_b32 s28, v4
	s_wait_alu 0xfffe
	s_delay_alu instid0(VALU_DEP_1)
	s_mul_u64 s[30:31], s[30:31], s[28:29]
	s_wait_alu 0xfffe
	s_mul_hi_u32 s35, s28, s31
	s_mul_i32 s34, s28, s31
	s_mul_hi_u32 s2, s28, s30
	s_mul_i32 s33, s29, s30
	s_wait_alu 0xfffe
	s_add_nc_u64 s[34:35], s[2:3], s[34:35]
	s_mul_hi_u32 s27, s29, s30
	s_mul_hi_u32 s28, s29, s31
	s_wait_alu 0xfffe
	s_add_co_u32 s2, s34, s33
	s_add_co_ci_u32 s2, s35, s27
	s_mul_i32 s30, s29, s31
	s_add_co_ci_u32 s31, s28, 0
	s_wait_alu 0xfffe
	s_add_nc_u64 s[30:31], s[2:3], s[30:31]
	s_wait_alu 0xfffe
	v_add_co_u32 v6, s2, v4, s30
	s_delay_alu instid0(VALU_DEP_1) | instskip(SKIP_1) | instid1(VALU_DEP_1)
	s_cmp_lg_u32 s2, 0
	s_add_co_ci_u32 s2, s29, s31
	v_mul_hi_u32 v8, v9, v6
	s_wait_alu 0xfffe
	v_mad_co_u64_u32 v[4:5], null, v9, s2, 0
	v_mad_co_u64_u32 v[14:15], null, v10, v6, 0
	;; [unrolled: 1-line block ×3, first 2 shown]
	s_delay_alu instid0(VALU_DEP_3) | instskip(SKIP_1) | instid1(VALU_DEP_4)
	v_add_co_u32 v4, vcc_lo, v8, v4
	s_wait_alu 0xfffd
	v_add_co_ci_u32_e32 v5, vcc_lo, 0, v5, vcc_lo
	s_delay_alu instid0(VALU_DEP_2) | instskip(SKIP_1) | instid1(VALU_DEP_2)
	v_add_co_u32 v4, vcc_lo, v4, v14
	s_wait_alu 0xfffd
	v_add_co_ci_u32_e32 v4, vcc_lo, v5, v15, vcc_lo
	s_wait_alu 0xfffd
	v_add_co_ci_u32_e32 v5, vcc_lo, 0, v17, vcc_lo
	s_delay_alu instid0(VALU_DEP_2) | instskip(SKIP_1) | instid1(VALU_DEP_2)
	v_add_co_u32 v8, vcc_lo, v4, v16
	s_wait_alu 0xfffd
	v_add_co_ci_u32_e32 v6, vcc_lo, 0, v5, vcc_lo
	s_delay_alu instid0(VALU_DEP_2) | instskip(SKIP_1) | instid1(VALU_DEP_3)
	v_mul_lo_u32 v11, s25, v8
	v_mad_co_u64_u32 v[4:5], null, s24, v8, 0
	v_mul_lo_u32 v14, s24, v6
	s_delay_alu instid0(VALU_DEP_2) | instskip(NEXT) | instid1(VALU_DEP_2)
	v_sub_co_u32 v4, vcc_lo, v9, v4
	v_add3_u32 v5, v5, v14, v11
	s_delay_alu instid0(VALU_DEP_1) | instskip(SKIP_1) | instid1(VALU_DEP_1)
	v_sub_nc_u32_e32 v11, v10, v5
	s_wait_alu 0xfffd
	v_subrev_co_ci_u32_e64 v11, s2, s25, v11, vcc_lo
	v_add_co_u32 v14, s2, v8, 2
	s_wait_alu 0xf1ff
	v_add_co_ci_u32_e64 v15, s2, 0, v6, s2
	v_sub_co_u32 v16, s2, v4, s24
	v_sub_co_ci_u32_e32 v5, vcc_lo, v10, v5, vcc_lo
	s_wait_alu 0xf1ff
	v_subrev_co_ci_u32_e64 v11, s2, 0, v11, s2
	s_delay_alu instid0(VALU_DEP_3) | instskip(NEXT) | instid1(VALU_DEP_3)
	v_cmp_le_u32_e32 vcc_lo, s24, v16
	v_cmp_eq_u32_e64 s2, s25, v5
	s_wait_alu 0xfffd
	v_cndmask_b32_e64 v16, 0, -1, vcc_lo
	v_cmp_le_u32_e32 vcc_lo, s25, v11
	s_wait_alu 0xfffd
	v_cndmask_b32_e64 v17, 0, -1, vcc_lo
	v_cmp_le_u32_e32 vcc_lo, s24, v4
	;; [unrolled: 3-line block ×3, first 2 shown]
	s_wait_alu 0xfffd
	v_cndmask_b32_e64 v18, 0, -1, vcc_lo
	v_cmp_eq_u32_e32 vcc_lo, s25, v11
	s_wait_alu 0xf1ff
	s_delay_alu instid0(VALU_DEP_2)
	v_cndmask_b32_e64 v4, v18, v4, s2
	s_wait_alu 0xfffd
	v_cndmask_b32_e32 v11, v17, v16, vcc_lo
	v_add_co_u32 v16, vcc_lo, v8, 1
	s_wait_alu 0xfffd
	v_add_co_ci_u32_e32 v17, vcc_lo, 0, v6, vcc_lo
	s_delay_alu instid0(VALU_DEP_3) | instskip(SKIP_1) | instid1(VALU_DEP_2)
	v_cmp_ne_u32_e32 vcc_lo, 0, v11
	s_wait_alu 0xfffd
	v_cndmask_b32_e32 v5, v17, v15, vcc_lo
	v_cndmask_b32_e32 v11, v16, v14, vcc_lo
	v_cmp_ne_u32_e32 vcc_lo, 0, v4
	s_wait_alu 0xfffd
	s_delay_alu instid0(VALU_DEP_2)
	v_dual_cndmask_b32 v6, v6, v5 :: v_dual_cndmask_b32 v5, v8, v11
.LBB0_4:                                ;   in Loop: Header=BB0_2 Depth=1
	s_wait_alu 0xfffe
	s_and_not1_saveexec_b32 s2, s26
	s_cbranch_execz .LBB0_6
; %bb.5:                                ;   in Loop: Header=BB0_2 Depth=1
	v_cvt_f32_u32_e32 v4, s24
	s_sub_co_i32 s26, 0, s24
	s_delay_alu instid0(VALU_DEP_1) | instskip(NEXT) | instid1(TRANS32_DEP_1)
	v_rcp_iflag_f32_e32 v4, v4
	v_mul_f32_e32 v4, 0x4f7ffffe, v4
	s_delay_alu instid0(VALU_DEP_1) | instskip(SKIP_1) | instid1(VALU_DEP_1)
	v_cvt_u32_f32_e32 v4, v4
	s_wait_alu 0xfffe
	v_mul_lo_u32 v5, s26, v4
	s_delay_alu instid0(VALU_DEP_1) | instskip(NEXT) | instid1(VALU_DEP_1)
	v_mul_hi_u32 v5, v4, v5
	v_add_nc_u32_e32 v4, v4, v5
	s_delay_alu instid0(VALU_DEP_1) | instskip(NEXT) | instid1(VALU_DEP_1)
	v_mul_hi_u32 v4, v9, v4
	v_mul_lo_u32 v5, v4, s24
	v_add_nc_u32_e32 v6, 1, v4
	s_delay_alu instid0(VALU_DEP_2) | instskip(NEXT) | instid1(VALU_DEP_1)
	v_sub_nc_u32_e32 v5, v9, v5
	v_subrev_nc_u32_e32 v8, s24, v5
	v_cmp_le_u32_e32 vcc_lo, s24, v5
	s_wait_alu 0xfffd
	s_delay_alu instid0(VALU_DEP_2) | instskip(NEXT) | instid1(VALU_DEP_1)
	v_dual_cndmask_b32 v5, v5, v8 :: v_dual_cndmask_b32 v4, v4, v6
	v_cmp_le_u32_e32 vcc_lo, s24, v5
	s_delay_alu instid0(VALU_DEP_2) | instskip(SKIP_1) | instid1(VALU_DEP_1)
	v_add_nc_u32_e32 v6, 1, v4
	s_wait_alu 0xfffd
	v_dual_cndmask_b32 v5, v4, v6 :: v_dual_mov_b32 v6, v7
.LBB0_6:                                ;   in Loop: Header=BB0_2 Depth=1
	s_wait_alu 0xfffe
	s_or_b32 exec_lo, exec_lo, s2
	s_delay_alu instid0(VALU_DEP_1) | instskip(NEXT) | instid1(VALU_DEP_2)
	v_mul_lo_u32 v4, v6, s24
	v_mul_lo_u32 v8, v5, s25
	s_load_b64 s[26:27], s[18:19], 0x0
	v_mad_co_u64_u32 v[14:15], null, v5, s24, 0
	s_load_b64 s[24:25], s[16:17], 0x0
	s_add_nc_u64 s[20:21], s[20:21], 1
	s_add_nc_u64 s[16:17], s[16:17], 8
	s_wait_alu 0xfffe
	v_cmp_ge_u64_e64 s2, s[20:21], s[10:11]
	s_add_nc_u64 s[18:19], s[18:19], 8
	s_add_nc_u64 s[22:23], s[22:23], 8
	v_add3_u32 v4, v15, v8, v4
	v_sub_co_u32 v8, vcc_lo, v9, v14
	s_wait_alu 0xfffd
	s_delay_alu instid0(VALU_DEP_2) | instskip(SKIP_2) | instid1(VALU_DEP_1)
	v_sub_co_ci_u32_e32 v4, vcc_lo, v10, v4, vcc_lo
	s_and_b32 vcc_lo, exec_lo, s2
	s_wait_kmcnt 0x0
	v_mul_lo_u32 v9, s26, v4
	v_mul_lo_u32 v10, s27, v8
	v_mad_co_u64_u32 v[12:13], null, s26, v8, v[12:13]
	v_mul_lo_u32 v4, s24, v4
	v_mul_lo_u32 v11, s25, v8
	v_mad_co_u64_u32 v[1:2], null, s24, v8, v[1:2]
	s_delay_alu instid0(VALU_DEP_4) | instskip(NEXT) | instid1(VALU_DEP_2)
	v_add3_u32 v13, v10, v13, v9
	v_add3_u32 v2, v11, v2, v4
	s_wait_alu 0xfffe
	s_cbranch_vccnz .LBB0_8
; %bb.7:                                ;   in Loop: Header=BB0_2 Depth=1
	v_dual_mov_b32 v10, v6 :: v_dual_mov_b32 v9, v5
	s_branch .LBB0_2
.LBB0_8:
	s_load_b64 s[0:1], s[0:1], 0x28
	v_mul_hi_u32 v4, 0x38e38e39, v3
	s_lshl_b64 s[10:11], s[10:11], 3
                                        ; implicit-def: $vgpr11
                                        ; implicit-def: $vgpr9
	s_delay_alu instid0(VALU_DEP_1) | instskip(NEXT) | instid1(VALU_DEP_1)
	v_lshrrev_b32_e32 v4, 2, v4
	v_mul_lo_u32 v7, v4, 18
	v_mul_hi_u32 v4, 0x1745d175, v0
	s_wait_kmcnt 0x0
	v_cmp_gt_u64_e32 vcc_lo, s[0:1], v[5:6]
	v_cmp_le_u64_e64 s0, s[0:1], v[5:6]
	s_delay_alu instid0(VALU_DEP_4) | instskip(NEXT) | instid1(VALU_DEP_2)
	v_sub_nc_u32_e32 v8, v3, v7
                                        ; implicit-def: $vgpr3
                                        ; implicit-def: $vgpr7
	s_and_saveexec_b32 s1, s0
	s_wait_alu 0xfffe
	s_xor_b32 s0, exec_lo, s1
; %bb.9:
	v_mul_u32_u24_e32 v3, 11, v4
                                        ; implicit-def: $vgpr4
                                        ; implicit-def: $vgpr12_vgpr13
	s_delay_alu instid0(VALU_DEP_1) | instskip(NEXT) | instid1(VALU_DEP_1)
	v_sub_nc_u32_e32 v3, v0, v3
                                        ; implicit-def: $vgpr0
	v_add_nc_u32_e32 v7, 11, v3
	v_add_nc_u32_e32 v11, 22, v3
	;; [unrolled: 1-line block ×3, first 2 shown]
; %bb.10:
	s_wait_alu 0xfffe
	s_or_saveexec_b32 s1, s0
	v_mul_u32_u24_e32 v8, 0x6f, v8
	s_add_nc_u64 s[2:3], s[14:15], s[10:11]
	s_delay_alu instid0(VALU_DEP_1)
	v_lshlrev_b32_e32 v8, 2, v8
	s_wait_alu 0xfffe
	s_xor_b32 exec_lo, exec_lo, s1
	s_cbranch_execz .LBB0_12
; %bb.11:
	s_add_nc_u64 s[10:11], s[12:13], s[10:11]
	v_lshlrev_b64_e32 v[11:12], 2, v[12:13]
	s_load_b64 s[10:11], s[10:11], 0x0
	s_wait_kmcnt 0x0
	v_mul_lo_u32 v3, s11, v5
	v_mul_lo_u32 v7, s10, v6
	v_mad_co_u64_u32 v[9:10], null, s10, v5, 0
	s_delay_alu instid0(VALU_DEP_1) | instskip(SKIP_1) | instid1(VALU_DEP_2)
	v_add3_u32 v10, v10, v7, v3
	v_mul_u32_u24_e32 v3, 11, v4
	v_lshlrev_b64_e32 v[9:10], 2, v[9:10]
	s_delay_alu instid0(VALU_DEP_2) | instskip(NEXT) | instid1(VALU_DEP_1)
	v_sub_nc_u32_e32 v3, v0, v3
	v_lshlrev_b32_e32 v7, 2, v3
	s_delay_alu instid0(VALU_DEP_3) | instskip(SKIP_1) | instid1(VALU_DEP_4)
	v_add_co_u32 v0, s0, s4, v9
	s_wait_alu 0xf1ff
	v_add_co_ci_u32_e64 v4, s0, s5, v10, s0
	s_delay_alu instid0(VALU_DEP_3) | instskip(NEXT) | instid1(VALU_DEP_3)
	v_add3_u32 v19, 0, v8, v7
	v_add_co_u32 v0, s0, v0, v11
	s_wait_alu 0xf1ff
	s_delay_alu instid0(VALU_DEP_3) | instskip(SKIP_1) | instid1(VALU_DEP_3)
	v_add_co_ci_u32_e64 v4, s0, v4, v12, s0
	v_add_nc_u32_e32 v11, 22, v3
	v_add_co_u32 v9, s0, v0, v7
	s_wait_alu 0xf1ff
	s_delay_alu instid0(VALU_DEP_3)
	v_add_co_ci_u32_e64 v10, s0, 0, v4, s0
	s_clause 0x9
	global_load_b32 v0, v[9:10], off
	global_load_b32 v4, v[9:10], off offset:44
	global_load_b32 v12, v[9:10], off offset:88
	;; [unrolled: 1-line block ×9, first 2 shown]
	v_add_nc_u32_e32 v7, 11, v3
	v_add_nc_u32_e32 v9, 44, v3
	s_wait_loadcnt 0x8
	ds_store_2addr_b32 v19, v0, v4 offset1:11
	s_wait_loadcnt 0x6
	ds_store_2addr_b32 v19, v12, v13 offset0:22 offset1:33
	s_wait_loadcnt 0x4
	ds_store_2addr_b32 v19, v14, v15 offset0:44 offset1:55
	;; [unrolled: 2-line block ×4, first 2 shown]
.LBB0_12:
	s_or_b32 exec_lo, exec_lo, s1
	v_add_nc_u32_e32 v0, 0, v8
	v_lshlrev_b32_e32 v4, 2, v3
	s_load_b64 s[2:3], s[2:3], 0x0
	global_wb scope:SCOPE_SE
	s_wait_dscnt 0x0
	s_wait_kmcnt 0x0
	s_barrier_signal -1
	s_barrier_wait -1
	v_add_nc_u32_e32 v22, v0, v4
	v_add3_u32 v8, 0, v4, v8
	global_inv scope:SCOPE_SE
	v_and_b32_e32 v21, 1, v3
	ds_load_b32 v10, v22
	ds_load_2addr_b32 v[12:13], v8 offset0:55 offset1:66
	ds_load_2addr_b32 v[14:15], v8 offset0:11 offset1:22
	;; [unrolled: 1-line block ×4, first 2 shown]
	ds_load_b32 v20, v8 offset:396
	v_add_nc_u32_e32 v23, v8, v4
	v_and_b32_e32 v31, 1, v7
	v_lshl_add_u32 v27, v7, 3, v0
	v_lshl_add_u32 v28, v11, 3, v0
	;; [unrolled: 1-line block ×3, first 2 shown]
	global_wb scope:SCOPE_SE
	s_wait_dscnt 0x0
	s_barrier_signal -1
	s_barrier_wait -1
	global_inv scope:SCOPE_SE
	v_cmp_gt_u32_e64 s0, 10, v3
	v_pk_add_f16 v12, v10, v12 neg_lo:[0,1] neg_hi:[0,1]
	v_pk_add_f16 v13, v14, v13 neg_lo:[0,1] neg_hi:[0,1]
	;; [unrolled: 1-line block ×5, first 2 shown]
	v_pk_fma_f16 v10, v10, 2.0, v12 op_sel_hi:[1,0,1] neg_lo:[0,0,1] neg_hi:[0,0,1]
	v_pk_fma_f16 v14, v14, 2.0, v13 op_sel_hi:[1,0,1] neg_lo:[0,0,1] neg_hi:[0,0,1]
	;; [unrolled: 1-line block ×5, first 2 shown]
	ds_store_2addr_b32 v23, v10, v12 offset1:1
	ds_store_2addr_b32 v27, v14, v13 offset1:1
	;; [unrolled: 1-line block ×3, first 2 shown]
	ds_store_2addr_b32 v23, v18, v17 offset0:66 offset1:67
	ds_store_2addr_b32 v29, v19, v20 offset1:1
	v_lshlrev_b32_e32 v10, 4, v21
	v_lshlrev_b32_e32 v12, 4, v31
	global_wb scope:SCOPE_SE
	s_wait_dscnt 0x0
	s_barrier_signal -1
	s_barrier_wait -1
	global_inv scope:SCOPE_SE
	s_clause 0x1
	global_load_b128 v[15:18], v10, s[8:9]
	global_load_b128 v[23:26], v12, s[8:9]
	v_lshlrev_b32_e32 v12, 2, v7
	v_lshrrev_b32_e32 v10, 1, v3
	v_lshrrev_b32_e32 v13, 1, v7
	v_lshlrev_b32_e32 v14, 2, v11
	v_lshlrev_b32_e32 v19, 2, v9
	v_sub_nc_u32_e32 v12, v27, v12
	v_mul_u32_u24_e32 v10, 10, v10
	v_mul_lo_u32 v32, v13, 10
	v_sub_nc_u32_e32 v33, v28, v14
	v_sub_nc_u32_e32 v34, v29, v19
	ds_load_b32 v14, v22
	ds_load_b32 v13, v12
	ds_load_2addr_b32 v[19:20], v8 offset0:33 offset1:55
	ds_load_2addr_b32 v[27:28], v8 offset0:66 offset1:77
	;; [unrolled: 1-line block ×3, first 2 shown]
	ds_load_b32 v12, v33
	ds_load_b32 v35, v34
	v_or_b32_e32 v10, v10, v21
	v_or_b32_e32 v21, v32, v31
	s_delay_alu instid0(VALU_DEP_2)
	v_lshl_add_u32 v31, v10, 2, v0
	ds_load_u16 v10, v8 offset:134
	global_wb scope:SCOPE_SE
	s_wait_loadcnt_dscnt 0x0
	s_barrier_signal -1
	v_lshl_add_u32 v32, v21, 2, v0
	s_barrier_wait -1
	global_inv scope:SCOPE_SE
	v_lshrrev_b32_e32 v34, 16, v14
	v_lshrrev_b32_e32 v33, 16, v13
	;; [unrolled: 1-line block ×17, first 2 shown]
	v_mul_f16_e32 v50, v42, v38
	v_mul_f16_e32 v42, v42, v12
	;; [unrolled: 1-line block ×16, first 2 shown]
	v_fmac_f16_e32 v50, v15, v12
	v_fma_f16 v12, v15, v38, -v42
	v_fmac_f16_e32 v51, v16, v35
	v_fma_f16 v16, v16, v39, -v43
	;; [unrolled: 2-line block ×8, first 2 shown]
	v_add_f16_e32 v15, v14, v50
	v_add_f16_e32 v20, v51, v52
	;; [unrolled: 1-line block ×3, first 2 shown]
	v_sub_f16_e32 v29, v51, v50
	v_sub_f16_e32 v30, v52, v53
	v_add_f16_e32 v35, v34, v12
	v_add_f16_e32 v36, v16, v17
	;; [unrolled: 1-line block ×6, first 2 shown]
	v_sub_f16_e32 v25, v12, v18
	v_sub_f16_e32 v37, v12, v16
	;; [unrolled: 1-line block ×4, first 2 shown]
	v_add_f16_e32 v43, v13, v54
	v_add_f16_e32 v49, v54, v57
	v_add_f16_e32 v64, v10, v24
	v_sub_f16_e32 v21, v50, v51
	v_sub_f16_e32 v41, v50, v53
	;; [unrolled: 1-line block ×4, first 2 shown]
	v_add_f16_e32 v51, v15, v51
	v_fma_f16 v15, -0.5, v20, v14
	v_fmac_f16_e32 v14, -0.5, v28
	v_add_f16_e32 v28, v29, v30
	v_add_f16_e32 v29, v35, v16
	v_fma_f16 v35, -0.5, v36, v34
	v_sub_f16_e32 v26, v16, v17
	v_sub_f16_e32 v27, v53, v52
	v_fmac_f16_e32 v34, -0.5, v39
	v_sub_f16_e32 v45, v10, v24
	v_sub_f16_e32 v47, v54, v55
	;; [unrolled: 1-line block ×4, first 2 shown]
	v_fma_f16 v16, -0.5, v44, v13
	v_add_f16_e32 v39, v59, v19
	v_fma_f16 v36, -0.5, v60, v33
	v_sub_f16_e32 v46, v19, v23
	v_sub_f16_e32 v61, v55, v56
	v_add_f16_e32 v66, v12, v40
	v_add_f16_e32 v12, v43, v55
	v_fmac_f16_e32 v13, -0.5, v49
	v_fmac_f16_e32 v33, -0.5, v64
	v_sub_f16_e32 v48, v57, v56
	v_sub_f16_e32 v62, v10, v19
	v_sub_f16_e32 v10, v19, v10
	v_sub_f16_e32 v65, v23, v24
	v_add_f16_e32 v30, v37, v38
	v_fmamk_f16 v20, v25, 0xbb9c, v15
	v_fmamk_f16 v37, v41, 0x3b9c, v35
	v_add_f16_e32 v27, v21, v27
	v_fmamk_f16 v21, v26, 0x3b9c, v14
	v_fmac_f16_e32 v14, 0xbb9c, v26
	v_fmamk_f16 v38, v42, 0xbb9c, v34
	v_fmac_f16_e32 v34, 0x3b9c, v42
	v_fmac_f16_e32 v15, 0x3b9c, v25
	;; [unrolled: 1-line block ×3, first 2 shown]
	v_sub_f16_e32 v63, v24, v23
	v_fmamk_f16 v19, v45, 0xbb9c, v16
	v_add_f16_e32 v49, v39, v23
	v_fmamk_f16 v39, v54, 0x3b9c, v36
	v_sub_f16_e32 v58, v56, v57
	v_add_f16_e32 v17, v29, v17
	v_add_f16_e32 v29, v12, v56
	v_fmamk_f16 v12, v46, 0x3b9c, v13
	v_fmac_f16_e32 v13, 0xbb9c, v46
	v_fmamk_f16 v40, v61, 0xbb9c, v33
	v_fmac_f16_e32 v33, 0x3b9c, v61
	v_add_f16_e32 v43, v47, v48
	v_add_f16_e32 v48, v10, v65
	;; [unrolled: 1-line block ×3, first 2 shown]
	v_fmac_f16_e32 v16, 0x3b9c, v45
	v_fmac_f16_e32 v36, 0xbb9c, v54
	;; [unrolled: 1-line block ×10, first 2 shown]
	v_add_f16_e32 v47, v62, v63
	v_fmac_f16_e32 v19, 0xb8b4, v46
	v_fmac_f16_e32 v39, 0x38b4, v61
	v_add_f16_e32 v44, v50, v58
	v_fmac_f16_e32 v12, 0xb8b4, v45
	v_fmac_f16_e32 v13, 0x38b4, v45
	v_fmac_f16_e32 v40, 0x38b4, v54
	v_fmac_f16_e32 v33, 0xb8b4, v54
	v_add_f16_e32 v10, v10, v53
	v_add_f16_e32 v23, v17, v18
	v_fmac_f16_e32 v16, 0x38b4, v46
	v_fmac_f16_e32 v36, 0xb8b4, v61
	;; [unrolled: 1-line block ×10, first 2 shown]
	v_add_f16_e32 v18, v29, v57
	v_add_f16_e32 v41, v49, v24
	v_fmac_f16_e32 v19, 0x34f2, v43
	v_fmac_f16_e32 v39, 0x34f2, v47
	;; [unrolled: 1-line block ×8, first 2 shown]
	v_pack_b32_f16 v17, v10, v23
	v_pack_b32_f16 v25, v20, v37
	;; [unrolled: 1-line block ×10, first 2 shown]
	ds_store_2addr_b32 v31, v17, v25 offset1:2
	ds_store_2addr_b32 v31, v26, v27 offset0:4 offset1:6
	ds_store_b32 v31, v28 offset:32
	ds_store_2addr_b32 v32, v24, v29 offset1:2
	ds_store_2addr_b32 v32, v30, v42 offset0:4 offset1:6
	ds_store_b32 v32, v43 offset:32
	global_wb scope:SCOPE_SE
	s_wait_dscnt 0x0
	s_barrier_signal -1
	s_barrier_wait -1
	global_inv scope:SCOPE_SE
                                        ; implicit-def: $vgpr42
	s_and_saveexec_b32 s1, s0
	s_cbranch_execz .LBB0_14
; %bb.13:
	ds_load_b32 v10, v22
	ds_load_2addr_b32 v[12:13], v8 offset0:70 offset1:80
	ds_load_2addr_b32 v[16:17], v8 offset0:90 offset1:100
	;; [unrolled: 1-line block ×5, first 2 shown]
	s_wait_dscnt 0x5
	v_lshrrev_b32_e32 v23, 16, v10
	s_wait_dscnt 0x4
	v_lshrrev_b32_e32 v33, 16, v13
	;; [unrolled: 2-line block ×3, first 2 shown]
	v_lshrrev_b32_e32 v42, 16, v17
	s_wait_dscnt 0x2
	v_lshrrev_b32_e32 v37, 16, v20
	v_lshrrev_b32_e32 v38, 16, v21
	s_wait_dscnt 0x1
	v_lshrrev_b32_e32 v34, 16, v14
	;; [unrolled: 3-line block ×3, first 2 shown]
	v_lshrrev_b32_e32 v39, 16, v19
	v_lshrrev_b32_e32 v40, 16, v12
.LBB0_14:
	s_wait_alu 0xfffe
	s_or_b32 exec_lo, exec_lo, s1
	global_wb scope:SCOPE_SE
	s_barrier_signal -1
	s_barrier_wait -1
	global_inv scope:SCOPE_SE
	s_and_saveexec_b32 s1, s0
	s_cbranch_execz .LBB0_16
; %bb.15:
	v_dual_mov_b32 v25, 0 :: v_dual_add_nc_u32 v24, -10, v3
	s_delay_alu instid0(VALU_DEP_1) | instskip(NEXT) | instid1(VALU_DEP_1)
	v_cndmask_b32_e64 v24, v24, v3, s0
	v_mul_i32_i24_e32 v24, 10, v24
	s_delay_alu instid0(VALU_DEP_1) | instskip(NEXT) | instid1(VALU_DEP_1)
	v_lshlrev_b64_e32 v[24:25], 2, v[24:25]
	v_add_co_u32 v24, s0, s8, v24
	s_wait_alu 0xf1ff
	s_delay_alu instid0(VALU_DEP_2)
	v_add_co_ci_u32_e64 v25, s0, s9, v25, s0
	s_clause 0x2
	global_load_b128 v[43:46], v[24:25], off offset:32
	global_load_b128 v[47:50], v[24:25], off offset:48
	global_load_b64 v[51:52], v[24:25], off offset:64
	s_wait_loadcnt 0x2
	v_lshrrev_b32_e32 v25, 16, v43
	v_lshrrev_b32_e32 v26, 16, v44
	s_wait_loadcnt 0x0
	v_lshrrev_b32_e32 v29, 16, v52
	v_lshrrev_b32_e32 v28, 16, v46
	;; [unrolled: 1-line block ×5, first 2 shown]
	v_mul_f16_e32 v56, v37, v25
	v_mul_f16_e32 v24, v42, v29
	;; [unrolled: 1-line block ×4, first 2 shown]
	v_lshrrev_b32_e32 v27, 16, v45
	v_lshrrev_b32_e32 v54, 16, v48
	;; [unrolled: 1-line block ×3, first 2 shown]
	v_mul_f16_e32 v32, v38, v26
	v_mul_f16_e32 v25, v36, v31
	;; [unrolled: 1-line block ×10, first 2 shown]
	v_fmac_f16_e32 v56, v20, v43
	v_fmac_f16_e32 v24, v17, v52
	v_fma_f16 v17, v42, v52, -v57
	v_fma_f16 v52, v37, v43, -v58
	v_mul_f16_e32 v31, v34, v27
	v_mul_f16_e32 v62, v14, v27
	;; [unrolled: 1-line block ×6, first 2 shown]
	v_fmac_f16_e32 v32, v21, v44
	v_fmac_f16_e32 v25, v16, v51
	v_fma_f16 v16, v36, v51, -v59
	v_fma_f16 v43, v38, v44, -v60
	v_fmac_f16_e32 v30, v15, v46
	v_fma_f16 v20, v35, v46, -v63
	v_fmac_f16_e32 v29, v18, v47
	v_fma_f16 v15, v41, v47, -v53
	v_add_f16_e32 v46, v10, v56
	v_add_f16_e32 v47, v23, v52
	v_fmac_f16_e32 v31, v14, v45
	v_fmac_f16_e32 v26, v13, v50
	v_fma_f16 v13, v33, v50, -v61
	v_fma_f16 v21, v34, v45, -v62
	v_fmac_f16_e32 v27, v12, v49
	v_fma_f16 v12, v40, v49, -v55
	v_fmac_f16_e32 v28, v19, v48
	v_fma_f16 v14, v39, v48, -v54
	v_sub_f16_e32 v33, v32, v25
	v_add_f16_e32 v41, v43, v16
	v_add_f16_e32 v18, v32, v25
	v_sub_f16_e32 v45, v43, v16
	v_add_f16_e32 v32, v46, v32
	v_add_f16_e32 v43, v47, v43
	v_sub_f16_e32 v19, v56, v24
	v_add_f16_e32 v42, v52, v17
	v_sub_f16_e32 v34, v31, v26
	v_add_f16_e32 v40, v21, v13
	v_add_f16_e32 v39, v20, v12
	v_sub_f16_e32 v36, v29, v28
	v_add_f16_e32 v38, v15, v14
	v_sub_f16_e32 v44, v52, v17
	v_sub_f16_e32 v35, v30, v27
	;; [unrolled: 1-line block ×3, first 2 shown]
	v_add_f16_e32 v49, v31, v26
	v_add_f16_e32 v21, v43, v21
	;; [unrolled: 1-line block ×4, first 2 shown]
	v_mul_f16_e32 v54, 0xbb47, v19
	v_mul_f16_e32 v56, 0x3482, v34
	;; [unrolled: 1-line block ×22, first 2 shown]
	v_sub_f16_e32 v50, v20, v12
	v_sub_f16_e32 v52, v15, v14
	v_mul_f16_e32 v55, 0xba0c, v33
	v_mul_f16_e32 v57, 0x3beb, v35
	;; [unrolled: 1-line block ×8, first 2 shown]
	v_add_f16_e32 v51, v30, v27
	v_add_f16_e32 v30, v31, v30
	;; [unrolled: 1-line block ×3, first 2 shown]
	v_mul_f16_e32 v60, 0xba0c, v45
	v_mul_f16_e32 v67, 0x3482, v45
	v_mul_f16_e32 v74, 0x3beb, v45
	v_mul_f16_e32 v81, 0x3853, v45
	v_mul_f16_e32 v45, 0xbb47, v45
	v_fmamk_f16 v97, v42, 0x36a6, v54
	v_fmamk_f16 v99, v40, 0xbbad, v56
	;; [unrolled: 1-line block ×3, first 2 shown]
	v_fma_f16 v102, v37, 0x36a6, -v59
	v_fmamk_f16 v103, v42, 0xb08e, v61
	v_fmamk_f16 v105, v40, 0x36a6, v63
	;; [unrolled: 1-line block ×7, first 2 shown]
	v_fma_f16 v75, v42, 0xbbad, -v75
	v_fma_f16 v68, v42, 0xb93d, -v68
	;; [unrolled: 1-line block ×4, first 2 shown]
	v_fmamk_f16 v54, v40, 0xb93d, v77
	v_fma_f16 v77, v40, 0xb93d, -v77
	v_fma_f16 v70, v40, 0x3abb, -v70
	;; [unrolled: 1-line block ×4, first 2 shown]
	v_fmamk_f16 v56, v38, 0xb08e, v79
	v_fma_f16 v79, v38, 0xb08e, -v79
	v_fma_f16 v72, v38, 0x36a6, -v72
	;; [unrolled: 1-line block ×4, first 2 shown]
	v_fmac_f16_e32 v59, 0x36a6, v37
	v_fmamk_f16 v58, v19, 0x3853, v82
	v_fmac_f16_e32 v82, 0xb853, v19
	v_fmamk_f16 v19, v33, 0x3b47, v83
	;; [unrolled: 2-line block ×6, first 2 shown]
	v_add_f16_e32 v53, v29, v28
	v_mul_f16_e32 v46, 0xba0c, v48
	v_mul_f16_e32 v47, 0x3482, v48
	;; [unrolled: 1-line block ×15, first 2 shown]
	v_fmamk_f16 v98, v41, 0xb93d, v55
	v_fmamk_f16 v100, v39, 0xb08e, v57
	;; [unrolled: 1-line block ×4, first 2 shown]
	v_fma_f16 v108, v37, 0xb08e, -v66
	v_fmamk_f16 v110, v41, 0xb08e, v69
	v_fmamk_f16 v112, v39, 0xbbad, v71
	v_fma_f16 v114, v37, 0xb93d, -v73
	v_fmamk_f16 v117, v41, 0x3abb, v76
	v_fma_f16 v76, v41, 0x3abb, -v76
	v_fma_f16 v69, v41, 0xb08e, -v69
	;; [unrolled: 1-line block ×4, first 2 shown]
	v_fmamk_f16 v55, v39, 0x36a6, v78
	v_fma_f16 v78, v39, 0x36a6, -v78
	v_fma_f16 v71, v39, 0xbbad, -v71
	;; [unrolled: 1-line block ×5, first 2 shown]
	v_fmac_f16_e32 v80, 0xbbad, v37
	v_fmac_f16_e32 v73, 0xb93d, v37
	;; [unrolled: 1-line block ×3, first 2 shown]
	v_add_f16_e32 v29, v30, v29
	v_add_f16_e32 v15, v20, v15
	v_fma_f16 v37, v37, 0x3abb, -v44
	v_fma_f16 v119, v18, 0xb93d, -v60
	v_fmac_f16_e32 v60, 0xb93d, v18
	v_fmamk_f16 v120, v18, 0x36a6, v45
	v_add_f16_e32 v42, v23, v42
	v_add_f16_e32 v58, v23, v58
	;; [unrolled: 1-line block ×4, first 2 shown]
	v_fma_f16 v115, v18, 0xb08e, -v74
	v_fma_f16 v44, v18, 0x3abb, -v81
	v_fmac_f16_e32 v81, 0x3abb, v18
	v_fmac_f16_e32 v74, 0xb08e, v18
	v_fma_f16 v118, v18, 0xbbad, -v67
	v_fmac_f16_e32 v67, 0xbbad, v18
	v_fma_f16 v18, v18, 0x36a6, -v45
	v_fma_f16 v32, v49, 0xb93d, -v46
	v_fmac_f16_e32 v46, 0xb93d, v49
	v_fma_f16 v43, v49, 0x3abb, -v87
	v_fmac_f16_e32 v87, 0x3abb, v49
	;; [unrolled: 2-line block ×4, first 2 shown]
	v_fmamk_f16 v122, v49, 0xb08e, v48
	v_fma_f16 v48, v49, 0xb08e, -v48
	v_fma_f16 v49, v51, 0x36a6, -v92
	v_fmac_f16_e32 v92, 0x36a6, v51
	v_fma_f16 v123, v51, 0xbbad, -v91
	v_fmac_f16_e32 v91, 0xbbad, v51
	v_fma_f16 v124, v51, 0x3abb, -v90
	v_fmac_f16_e32 v90, 0x3abb, v51
	v_fma_f16 v125, v51, 0xb08e, -v89
	v_fmac_f16_e32 v89, 0xb08e, v51
	v_fmamk_f16 v126, v51, 0xb93d, v50
	v_fma_f16 v50, v51, 0xb93d, -v50
	v_fma_f16 v51, v53, 0xb08e, -v96
	v_fmac_f16_e32 v96, 0xb08e, v53
	v_fma_f16 v127, v53, 0x36a6, -v95
	v_fmac_f16_e32 v95, 0x36a6, v53
	;; [unrolled: 2-line block ×4, first 2 shown]
	v_fma_f16 v130, 0xbbad, v53, v52
	v_fma_f16 v52, v53, 0xbbad, -v52
	v_add_f16_e32 v21, v23, v97
	v_add_f16_e32 v31, v23, v103
	;; [unrolled: 1-line block ×87, first 2 shown]
	v_add_f16_e64 v13, v130, v33
	v_add_f16_e32 v15, v101, v18
	v_add_f16_e64 v18, v129, v20
	v_add_f16_e32 v20, v107, v21
	;; [unrolled: 2-line block ×3, first 2 shown]
	v_add_f16_e32 v28, v127, v30
	v_add_f16_e32 v29, v56, v31
	;; [unrolled: 1-line block ×13, first 2 shown]
	v_pack_b32_f16 v13, v13, v19
	v_pack_b32_f16 v16, v39, v38
	;; [unrolled: 1-line block ×11, first 2 shown]
	ds_store_2addr_b32 v8, v13, v16 offset0:10 offset1:20
	ds_store_2addr_b32 v8, v19, v26 offset0:30 offset1:40
	;; [unrolled: 1-line block ×4, first 2 shown]
	ds_store_b32 v22, v12
	ds_store_2addr_b32 v8, v15, v10 offset0:90 offset1:100
.LBB0_16:
	s_wait_alu 0xfffe
	s_or_b32 exec_lo, exec_lo, s1
	global_wb scope:SCOPE_SE
	s_wait_dscnt 0x0
	s_barrier_signal -1
	s_barrier_wait -1
	global_inv scope:SCOPE_SE
	ds_load_b32 v8, v22
	v_sub_nc_u32_e32 v15, v0, v4
	s_mov_b32 s1, exec_lo
                                        ; implicit-def: $vgpr17
                                        ; implicit-def: $vgpr16
                                        ; implicit-def: $vgpr18
                                        ; implicit-def: $vgpr13_vgpr14
	v_cmpx_ne_u32_e32 0, v3
	s_wait_alu 0xfffe
	s_xor_b32 s1, exec_lo, s1
	s_cbranch_execz .LBB0_18
; %bb.17:
	v_mov_b32_e32 v4, 0
	s_delay_alu instid0(VALU_DEP_1) | instskip(NEXT) | instid1(VALU_DEP_1)
	v_lshlrev_b64_e32 v[12:13], 2, v[3:4]
	v_add_co_u32 v12, s0, s8, v12
	s_wait_alu 0xf1ff
	s_delay_alu instid0(VALU_DEP_2)
	v_add_co_ci_u32_e64 v13, s0, s9, v13, s0
	global_load_b32 v10, v[12:13], off offset:432
	ds_load_b32 v12, v15 offset:440
	s_wait_dscnt 0x0
	v_pk_add_f16 v13, v8, v12 neg_lo:[0,1] neg_hi:[0,1]
	v_pk_add_f16 v8, v12, v8
	s_delay_alu instid0(VALU_DEP_1) | instskip(SKIP_1) | instid1(VALU_DEP_2)
	v_bfi_b32 v12, 0xffff, v13, v8
	v_bfi_b32 v8, 0xffff, v8, v13
	v_pk_mul_f16 v12, v12, 0.5 op_sel_hi:[1,0]
	s_delay_alu instid0(VALU_DEP_2) | instskip(SKIP_1) | instid1(VALU_DEP_2)
	v_pk_mul_f16 v14, v8, 0.5 op_sel_hi:[1,0]
	s_wait_loadcnt 0x0
	v_pk_mul_f16 v13, v10, v12 op_sel:[1,0]
	v_pk_mul_f16 v10, v10, v12 op_sel_hi:[0,1]
	s_delay_alu instid0(VALU_DEP_3) | instskip(NEXT) | instid1(VALU_DEP_3)
	v_lshrrev_b32_e32 v12, 16, v14
	v_pk_fma_f16 v8, v8, 0.5, v13 op_sel_hi:[1,0,1]
	v_lshrrev_b32_e32 v16, 16, v13
	v_sub_f16_e32 v13, v14, v13
	v_lshrrev_b32_e32 v14, 16, v10
	s_delay_alu instid0(VALU_DEP_4) | instskip(SKIP_2) | instid1(VALU_DEP_4)
	v_pk_add_f16 v17, v8, v10 op_sel:[0,1] op_sel_hi:[1,0]
	v_pk_add_f16 v8, v8, v10 op_sel:[0,1] op_sel_hi:[1,0] neg_lo:[0,1] neg_hi:[0,1]
	v_sub_f16_e32 v12, v16, v12
	v_sub_f16_e32 v16, v13, v14
	v_dual_mov_b32 v14, v4 :: v_dual_mov_b32 v13, v3
	s_delay_alu instid0(VALU_DEP_4) | instskip(NEXT) | instid1(VALU_DEP_4)
	v_bfi_b32 v17, 0xffff, v17, v8
	v_sub_f16_e32 v18, v12, v10
                                        ; implicit-def: $vgpr8
.LBB0_18:
	s_wait_alu 0xfffe
	s_and_not1_saveexec_b32 s0, s1
	s_cbranch_execz .LBB0_20
; %bb.19:
	ds_load_u16 v4, v0 offset:222
	s_wait_dscnt 0x1
	s_wait_alu 0xfffe
	v_alignbit_b32 v10, s0, v8, 16
	v_lshrrev_b32_e32 v12, 16, v8
	v_dual_mov_b32 v13, 0 :: v_dual_mov_b32 v18, 0
	v_mov_b32_e32 v14, 0
	s_delay_alu instid0(VALU_DEP_4) | instskip(NEXT) | instid1(VALU_DEP_4)
	v_pk_add_f16 v10, v10, v8
	v_sub_f16_e32 v16, v8, v12
	s_delay_alu instid0(VALU_DEP_2)
	v_pack_b32_f16 v17, v10, 0
	s_wait_dscnt 0x0
	v_xor_b32_e32 v4, 0x8000, v4
	ds_store_b16 v0, v4 offset:222
.LBB0_20:
	s_wait_alu 0xfffe
	s_or_b32 exec_lo, exec_lo, s0
	s_wait_dscnt 0x0
	v_mov_b32_e32 v8, 0
	s_delay_alu instid0(VALU_DEP_1) | instskip(SKIP_3) | instid1(VALU_DEP_4)
	v_lshlrev_b64_e32 v[19:20], 2, v[7:8]
	v_mov_b32_e32 v12, v8
	v_mov_b32_e32 v10, v8
	v_lshl_add_u32 v7, v7, 2, v0
	v_add_co_u32 v19, s0, s8, v19
	s_wait_alu 0xf1ff
	v_add_co_ci_u32_e64 v20, s0, s9, v20, s0
	global_load_b32 v4, v[19:20], off offset:432
	v_lshlrev_b64_e32 v[19:20], 2, v[11:12]
	v_lshlrev_b64_e32 v[12:13], 2, v[13:14]
	v_lshl_add_u32 v11, v11, 2, v0
	s_delay_alu instid0(VALU_DEP_3) | instskip(SKIP_1) | instid1(VALU_DEP_4)
	v_add_co_u32 v19, s0, s8, v19
	s_wait_alu 0xf1ff
	v_add_co_ci_u32_e64 v20, s0, s9, v20, s0
	s_add_nc_u64 s[0:1], s[8:9], 0x1b0
	s_wait_alu 0xfffe
	v_add_co_u32 v12, s0, s0, v12
	global_load_b32 v19, v[19:20], off offset:432
	s_wait_alu 0xf1ff
	v_add_co_ci_u32_e64 v13, s0, s1, v13, s0
	global_load_b32 v14, v[12:13], off offset:132
	v_lshlrev_b64_e32 v[12:13], 2, v[9:10]
	v_lshl_add_u32 v9, v9, 2, v0
	s_delay_alu instid0(VALU_DEP_2) | instskip(SKIP_1) | instid1(VALU_DEP_3)
	v_add_co_u32 v12, s0, s8, v12
	s_wait_alu 0xf1ff
	v_add_co_ci_u32_e64 v13, s0, s9, v13, s0
	global_load_b32 v10, v[12:13], off offset:432
	ds_store_b16 v15, v18 offset:442
	ds_store_b32 v22, v17
	ds_store_b16 v15, v16 offset:440
	ds_load_b32 v12, v7
	ds_load_b32 v13, v15 offset:396
	s_wait_dscnt 0x0
	v_pk_add_f16 v16, v12, v13 neg_lo:[0,1] neg_hi:[0,1]
	v_pk_add_f16 v12, v12, v13
	s_delay_alu instid0(VALU_DEP_1) | instskip(SKIP_1) | instid1(VALU_DEP_2)
	v_bfi_b32 v13, 0xffff, v16, v12
	v_bfi_b32 v12, 0xffff, v12, v16
	v_pk_mul_f16 v13, v13, 0.5 op_sel_hi:[1,0]
	s_delay_alu instid0(VALU_DEP_2) | instskip(SKIP_1) | instid1(VALU_DEP_1)
	v_pk_mul_f16 v12, v12, 0.5 op_sel_hi:[1,0]
	s_wait_loadcnt 0x3
	v_pk_fma_f16 v16, v4, v13, v12 op_sel:[1,0,0]
	v_pk_mul_f16 v17, v4, v13 op_sel_hi:[0,1]
	v_pk_fma_f16 v18, v4, v13, v12 op_sel:[1,0,0] neg_lo:[1,0,0] neg_hi:[1,0,0]
	v_pk_fma_f16 v4, v4, v13, v12 op_sel:[1,0,0] neg_lo:[0,0,1] neg_hi:[0,0,1]
	s_delay_alu instid0(VALU_DEP_3) | instskip(SKIP_1) | instid1(VALU_DEP_4)
	v_pk_add_f16 v12, v16, v17 op_sel:[0,1] op_sel_hi:[1,0]
	v_pk_add_f16 v13, v16, v17 op_sel:[0,1] op_sel_hi:[1,0] neg_lo:[0,1] neg_hi:[0,1]
	v_pk_add_f16 v16, v18, v17 op_sel:[0,1] op_sel_hi:[1,0] neg_lo:[0,1] neg_hi:[0,1]
	s_delay_alu instid0(VALU_DEP_4) | instskip(NEXT) | instid1(VALU_DEP_3)
	v_pk_add_f16 v4, v4, v17 op_sel:[0,1] op_sel_hi:[1,0] neg_lo:[0,1] neg_hi:[0,1]
	v_bfi_b32 v12, 0xffff, v12, v13
	s_delay_alu instid0(VALU_DEP_2)
	v_bfi_b32 v4, 0xffff, v16, v4
	ds_store_b32 v7, v12
	ds_store_b32 v15, v4 offset:396
	ds_load_b32 v4, v11
	ds_load_b32 v7, v15 offset:352
	s_wait_dscnt 0x0
	v_pk_add_f16 v12, v4, v7 neg_lo:[0,1] neg_hi:[0,1]
	v_pk_add_f16 v4, v4, v7
	s_delay_alu instid0(VALU_DEP_1) | instskip(SKIP_1) | instid1(VALU_DEP_2)
	v_bfi_b32 v7, 0xffff, v12, v4
	v_bfi_b32 v4, 0xffff, v4, v12
	v_pk_mul_f16 v7, v7, 0.5 op_sel_hi:[1,0]
	s_delay_alu instid0(VALU_DEP_2) | instskip(SKIP_1) | instid1(VALU_DEP_2)
	v_pk_mul_f16 v4, v4, 0.5 op_sel_hi:[1,0]
	s_wait_loadcnt 0x2
	v_pk_mul_f16 v13, v19, v7 op_sel_hi:[0,1]
	s_delay_alu instid0(VALU_DEP_2) | instskip(SKIP_2) | instid1(VALU_DEP_3)
	v_pk_fma_f16 v12, v19, v7, v4 op_sel:[1,0,0]
	v_pk_fma_f16 v16, v19, v7, v4 op_sel:[1,0,0] neg_lo:[1,0,0] neg_hi:[1,0,0]
	v_pk_fma_f16 v4, v19, v7, v4 op_sel:[1,0,0] neg_lo:[0,0,1] neg_hi:[0,0,1]
	v_pk_add_f16 v7, v12, v13 op_sel:[0,1] op_sel_hi:[1,0]
	v_pk_add_f16 v12, v12, v13 op_sel:[0,1] op_sel_hi:[1,0] neg_lo:[0,1] neg_hi:[0,1]
	s_delay_alu instid0(VALU_DEP_4) | instskip(NEXT) | instid1(VALU_DEP_4)
	v_pk_add_f16 v16, v16, v13 op_sel:[0,1] op_sel_hi:[1,0] neg_lo:[0,1] neg_hi:[0,1]
	v_pk_add_f16 v4, v4, v13 op_sel:[0,1] op_sel_hi:[1,0] neg_lo:[0,1] neg_hi:[0,1]
	s_delay_alu instid0(VALU_DEP_3) | instskip(NEXT) | instid1(VALU_DEP_2)
	v_bfi_b32 v7, 0xffff, v7, v12
	v_bfi_b32 v4, 0xffff, v16, v4
	ds_store_b32 v11, v7
	ds_store_b32 v15, v4 offset:352
	ds_load_b32 v4, v22 offset:132
	ds_load_b32 v7, v15 offset:308
	s_wait_dscnt 0x0
	v_pk_add_f16 v11, v4, v7 neg_lo:[0,1] neg_hi:[0,1]
	v_pk_add_f16 v4, v4, v7
	s_delay_alu instid0(VALU_DEP_1) | instskip(SKIP_1) | instid1(VALU_DEP_2)
	v_bfi_b32 v7, 0xffff, v11, v4
	v_bfi_b32 v4, 0xffff, v4, v11
	v_pk_mul_f16 v7, v7, 0.5 op_sel_hi:[1,0]
	s_delay_alu instid0(VALU_DEP_2) | instskip(SKIP_1) | instid1(VALU_DEP_2)
	v_pk_mul_f16 v4, v4, 0.5 op_sel_hi:[1,0]
	s_wait_loadcnt 0x1
	v_pk_mul_f16 v12, v14, v7 op_sel_hi:[0,1]
	s_delay_alu instid0(VALU_DEP_2) | instskip(SKIP_2) | instid1(VALU_DEP_3)
	v_pk_fma_f16 v11, v14, v7, v4 op_sel:[1,0,0]
	v_pk_fma_f16 v13, v14, v7, v4 op_sel:[1,0,0] neg_lo:[1,0,0] neg_hi:[1,0,0]
	v_pk_fma_f16 v4, v14, v7, v4 op_sel:[1,0,0] neg_lo:[0,0,1] neg_hi:[0,0,1]
	v_pk_add_f16 v7, v11, v12 op_sel:[0,1] op_sel_hi:[1,0]
	v_pk_add_f16 v11, v11, v12 op_sel:[0,1] op_sel_hi:[1,0] neg_lo:[0,1] neg_hi:[0,1]
	s_delay_alu instid0(VALU_DEP_4) | instskip(NEXT) | instid1(VALU_DEP_4)
	v_pk_add_f16 v13, v13, v12 op_sel:[0,1] op_sel_hi:[1,0] neg_lo:[0,1] neg_hi:[0,1]
	v_pk_add_f16 v4, v4, v12 op_sel:[0,1] op_sel_hi:[1,0] neg_lo:[0,1] neg_hi:[0,1]
	s_delay_alu instid0(VALU_DEP_3) | instskip(NEXT) | instid1(VALU_DEP_2)
	v_bfi_b32 v7, 0xffff, v7, v11
	v_bfi_b32 v4, 0xffff, v13, v4
	ds_store_b32 v22, v7 offset:132
	ds_store_b32 v15, v4 offset:308
	ds_load_b32 v4, v9
	ds_load_b32 v7, v15 offset:264
	s_wait_dscnt 0x0
	v_pk_add_f16 v11, v4, v7 neg_lo:[0,1] neg_hi:[0,1]
	v_pk_add_f16 v4, v4, v7
	s_delay_alu instid0(VALU_DEP_1) | instskip(SKIP_1) | instid1(VALU_DEP_2)
	v_bfi_b32 v7, 0xffff, v11, v4
	v_bfi_b32 v4, 0xffff, v4, v11
	v_pk_mul_f16 v7, v7, 0.5 op_sel_hi:[1,0]
	s_delay_alu instid0(VALU_DEP_2) | instskip(SKIP_1) | instid1(VALU_DEP_2)
	v_pk_mul_f16 v4, v4, 0.5 op_sel_hi:[1,0]
	s_wait_loadcnt 0x0
	v_pk_mul_f16 v12, v10, v7 op_sel_hi:[0,1]
	s_delay_alu instid0(VALU_DEP_2) | instskip(SKIP_2) | instid1(VALU_DEP_3)
	v_pk_fma_f16 v11, v10, v7, v4 op_sel:[1,0,0]
	v_pk_fma_f16 v13, v10, v7, v4 op_sel:[1,0,0] neg_lo:[1,0,0] neg_hi:[1,0,0]
	v_pk_fma_f16 v4, v10, v7, v4 op_sel:[1,0,0] neg_lo:[0,0,1] neg_hi:[0,0,1]
	v_pk_add_f16 v7, v11, v12 op_sel:[0,1] op_sel_hi:[1,0]
	v_pk_add_f16 v10, v11, v12 op_sel:[0,1] op_sel_hi:[1,0] neg_lo:[0,1] neg_hi:[0,1]
	s_delay_alu instid0(VALU_DEP_4) | instskip(NEXT) | instid1(VALU_DEP_4)
	v_pk_add_f16 v11, v13, v12 op_sel:[0,1] op_sel_hi:[1,0] neg_lo:[0,1] neg_hi:[0,1]
	v_pk_add_f16 v4, v4, v12 op_sel:[0,1] op_sel_hi:[1,0] neg_lo:[0,1] neg_hi:[0,1]
	s_delay_alu instid0(VALU_DEP_3) | instskip(NEXT) | instid1(VALU_DEP_2)
	v_bfi_b32 v7, 0xffff, v7, v10
	v_bfi_b32 v4, 0xffff, v11, v4
	ds_store_b32 v9, v7
	ds_store_b32 v15, v4 offset:264
	global_wb scope:SCOPE_SE
	s_wait_dscnt 0x0
	s_barrier_signal -1
	s_barrier_wait -1
	global_inv scope:SCOPE_SE
	s_and_saveexec_b32 s0, vcc_lo
	s_cbranch_execz .LBB0_23
; %bb.21:
	v_mul_lo_u32 v4, s3, v5
	v_mul_lo_u32 v6, s2, v6
	v_mad_co_u64_u32 v[9:10], null, s2, v5, 0
	v_lshl_add_u32 v5, v3, 2, v0
	v_lshlrev_b64_e32 v[0:1], 2, v[1:2]
	v_add_nc_u32_e32 v7, 11, v3
	ds_load_2addr_b32 v[13:14], v5 offset1:11
	v_add3_u32 v10, v10, v6, v4
	v_mov_b32_e32 v4, v8
	ds_load_2addr_b32 v[17:18], v5 offset0:22 offset1:33
	v_lshlrev_b64_e32 v[15:16], 2, v[7:8]
	v_add_nc_u32_e32 v7, 22, v3
	v_lshlrev_b64_e32 v[9:10], 2, v[9:10]
	v_lshlrev_b64_e32 v[11:12], 2, v[3:4]
	ds_load_2addr_b32 v[23:24], v5 offset0:44 offset1:55
	ds_load_2addr_b32 v[29:30], v5 offset0:66 offset1:77
	;; [unrolled: 1-line block ×3, first 2 shown]
	v_add_co_u32 v2, vcc_lo, s6, v9
	s_wait_alu 0xfffd
	v_add_co_ci_u32_e32 v4, vcc_lo, s7, v10, vcc_lo
	v_lshlrev_b64_e32 v[9:10], 2, v[7:8]
	v_add_nc_u32_e32 v7, 33, v3
	v_add_co_u32 v0, vcc_lo, v2, v0
	s_wait_alu 0xfffd
	v_add_co_ci_u32_e32 v1, vcc_lo, v4, v1, vcc_lo
	s_delay_alu instid0(VALU_DEP_3) | instskip(SKIP_4) | instid1(VALU_DEP_3)
	v_lshlrev_b64_e32 v[19:20], 2, v[7:8]
	v_add_nc_u32_e32 v7, 44, v3
	v_add_co_u32 v11, vcc_lo, v0, v11
	s_wait_alu 0xfffd
	v_add_co_ci_u32_e32 v12, vcc_lo, v1, v12, vcc_lo
	v_lshlrev_b64_e32 v[21:22], 2, v[7:8]
	v_add_nc_u32_e32 v7, 55, v3
	v_add_co_u32 v15, vcc_lo, v0, v15
	s_wait_alu 0xfffd
	v_add_co_ci_u32_e32 v16, vcc_lo, v1, v16, vcc_lo
	s_delay_alu instid0(VALU_DEP_3) | instskip(SKIP_4) | instid1(VALU_DEP_3)
	v_lshlrev_b64_e32 v[25:26], 2, v[7:8]
	v_add_nc_u32_e32 v7, 0x42, v3
	v_add_co_u32 v9, vcc_lo, v0, v9
	s_wait_alu 0xfffd
	v_add_co_ci_u32_e32 v10, vcc_lo, v1, v10, vcc_lo
	v_lshlrev_b64_e32 v[27:28], 2, v[7:8]
	v_add_nc_u32_e32 v7, 0x4d, v3
	v_add_co_u32 v19, vcc_lo, v0, v19
	s_wait_alu 0xfffd
	v_add_co_ci_u32_e32 v20, vcc_lo, v1, v20, vcc_lo
	s_delay_alu instid0(VALU_DEP_3)
	v_lshlrev_b64_e32 v[31:32], 2, v[7:8]
	v_add_nc_u32_e32 v7, 0x58, v3
	v_add_co_u32 v21, vcc_lo, v0, v21
	s_wait_alu 0xfffd
	v_add_co_ci_u32_e32 v22, vcc_lo, v1, v22, vcc_lo
	v_add_co_u32 v25, vcc_lo, v0, v25
	v_lshlrev_b64_e32 v[35:36], 2, v[7:8]
	v_add_nc_u32_e32 v7, 0x63, v3
	s_wait_alu 0xfffd
	v_add_co_ci_u32_e32 v26, vcc_lo, v1, v26, vcc_lo
	v_add_co_u32 v27, vcc_lo, v0, v27
	s_wait_alu 0xfffd
	v_add_co_ci_u32_e32 v28, vcc_lo, v1, v28, vcc_lo
	v_add_co_u32 v31, vcc_lo, v0, v31
	v_lshlrev_b64_e32 v[6:7], 2, v[7:8]
	s_wait_alu 0xfffd
	v_add_co_ci_u32_e32 v32, vcc_lo, v1, v32, vcc_lo
	v_add_co_u32 v35, vcc_lo, v0, v35
	s_wait_alu 0xfffd
	v_add_co_ci_u32_e32 v36, vcc_lo, v1, v36, vcc_lo
	v_add_co_u32 v6, vcc_lo, v0, v6
	s_wait_alu 0xfffd
	v_add_co_ci_u32_e32 v7, vcc_lo, v1, v7, vcc_lo
	v_cmp_eq_u32_e32 vcc_lo, 10, v3
	s_wait_dscnt 0x4
	s_clause 0x1
	global_store_b32 v[11:12], v13, off
	global_store_b32 v[15:16], v14, off
	s_wait_dscnt 0x3
	s_clause 0x1
	global_store_b32 v[9:10], v17, off
	global_store_b32 v[19:20], v18, off
	;; [unrolled: 4-line block ×5, first 2 shown]
	s_and_b32 exec_lo, exec_lo, vcc_lo
	s_cbranch_execz .LBB0_23
; %bb.22:
	ds_load_b32 v2, v5 offset:400
	s_wait_dscnt 0x0
	global_store_b32 v[0:1], v2, off offset:440
.LBB0_23:
	s_nop 0
	s_sendmsg sendmsg(MSG_DEALLOC_VGPRS)
	s_endpgm
	.section	.rodata,"a",@progbits
	.p2align	6, 0x0
	.amdhsa_kernel fft_rtc_back_len110_factors_2_5_11_wgs_198_tpt_11_half_op_CI_CI_unitstride_sbrr_R2C_dirReg
		.amdhsa_group_segment_fixed_size 0
		.amdhsa_private_segment_fixed_size 0
		.amdhsa_kernarg_size 104
		.amdhsa_user_sgpr_count 2
		.amdhsa_user_sgpr_dispatch_ptr 0
		.amdhsa_user_sgpr_queue_ptr 0
		.amdhsa_user_sgpr_kernarg_segment_ptr 1
		.amdhsa_user_sgpr_dispatch_id 0
		.amdhsa_user_sgpr_private_segment_size 0
		.amdhsa_wavefront_size32 1
		.amdhsa_uses_dynamic_stack 0
		.amdhsa_enable_private_segment 0
		.amdhsa_system_sgpr_workgroup_id_x 1
		.amdhsa_system_sgpr_workgroup_id_y 0
		.amdhsa_system_sgpr_workgroup_id_z 0
		.amdhsa_system_sgpr_workgroup_info 0
		.amdhsa_system_vgpr_workitem_id 0
		.amdhsa_next_free_vgpr 131
		.amdhsa_next_free_sgpr 39
		.amdhsa_reserve_vcc 1
		.amdhsa_float_round_mode_32 0
		.amdhsa_float_round_mode_16_64 0
		.amdhsa_float_denorm_mode_32 3
		.amdhsa_float_denorm_mode_16_64 3
		.amdhsa_fp16_overflow 0
		.amdhsa_workgroup_processor_mode 1
		.amdhsa_memory_ordered 1
		.amdhsa_forward_progress 0
		.amdhsa_round_robin_scheduling 0
		.amdhsa_exception_fp_ieee_invalid_op 0
		.amdhsa_exception_fp_denorm_src 0
		.amdhsa_exception_fp_ieee_div_zero 0
		.amdhsa_exception_fp_ieee_overflow 0
		.amdhsa_exception_fp_ieee_underflow 0
		.amdhsa_exception_fp_ieee_inexact 0
		.amdhsa_exception_int_div_zero 0
	.end_amdhsa_kernel
	.text
.Lfunc_end0:
	.size	fft_rtc_back_len110_factors_2_5_11_wgs_198_tpt_11_half_op_CI_CI_unitstride_sbrr_R2C_dirReg, .Lfunc_end0-fft_rtc_back_len110_factors_2_5_11_wgs_198_tpt_11_half_op_CI_CI_unitstride_sbrr_R2C_dirReg
                                        ; -- End function
	.section	.AMDGPU.csdata,"",@progbits
; Kernel info:
; codeLenInByte = 8076
; NumSgprs: 41
; NumVgprs: 131
; ScratchSize: 0
; MemoryBound: 0
; FloatMode: 240
; IeeeMode: 1
; LDSByteSize: 0 bytes/workgroup (compile time only)
; SGPRBlocks: 5
; VGPRBlocks: 16
; NumSGPRsForWavesPerEU: 41
; NumVGPRsForWavesPerEU: 131
; Occupancy: 10
; WaveLimiterHint : 1
; COMPUTE_PGM_RSRC2:SCRATCH_EN: 0
; COMPUTE_PGM_RSRC2:USER_SGPR: 2
; COMPUTE_PGM_RSRC2:TRAP_HANDLER: 0
; COMPUTE_PGM_RSRC2:TGID_X_EN: 1
; COMPUTE_PGM_RSRC2:TGID_Y_EN: 0
; COMPUTE_PGM_RSRC2:TGID_Z_EN: 0
; COMPUTE_PGM_RSRC2:TIDIG_COMP_CNT: 0
	.text
	.p2alignl 7, 3214868480
	.fill 96, 4, 3214868480
	.type	__hip_cuid_6a5c782f429a3ef0,@object ; @__hip_cuid_6a5c782f429a3ef0
	.section	.bss,"aw",@nobits
	.globl	__hip_cuid_6a5c782f429a3ef0
__hip_cuid_6a5c782f429a3ef0:
	.byte	0                               ; 0x0
	.size	__hip_cuid_6a5c782f429a3ef0, 1

	.ident	"AMD clang version 19.0.0git (https://github.com/RadeonOpenCompute/llvm-project roc-6.4.0 25133 c7fe45cf4b819c5991fe208aaa96edf142730f1d)"
	.section	".note.GNU-stack","",@progbits
	.addrsig
	.addrsig_sym __hip_cuid_6a5c782f429a3ef0
	.amdgpu_metadata
---
amdhsa.kernels:
  - .args:
      - .actual_access:  read_only
        .address_space:  global
        .offset:         0
        .size:           8
        .value_kind:     global_buffer
      - .offset:         8
        .size:           8
        .value_kind:     by_value
      - .actual_access:  read_only
        .address_space:  global
        .offset:         16
        .size:           8
        .value_kind:     global_buffer
      - .actual_access:  read_only
        .address_space:  global
        .offset:         24
        .size:           8
        .value_kind:     global_buffer
      - .actual_access:  read_only
        .address_space:  global
        .offset:         32
        .size:           8
        .value_kind:     global_buffer
      - .offset:         40
        .size:           8
        .value_kind:     by_value
      - .actual_access:  read_only
        .address_space:  global
        .offset:         48
        .size:           8
        .value_kind:     global_buffer
      - .actual_access:  read_only
        .address_space:  global
        .offset:         56
        .size:           8
        .value_kind:     global_buffer
      - .offset:         64
        .size:           4
        .value_kind:     by_value
      - .actual_access:  read_only
        .address_space:  global
        .offset:         72
        .size:           8
        .value_kind:     global_buffer
      - .actual_access:  read_only
        .address_space:  global
        .offset:         80
        .size:           8
        .value_kind:     global_buffer
      - .actual_access:  read_only
        .address_space:  global
        .offset:         88
        .size:           8
        .value_kind:     global_buffer
      - .actual_access:  write_only
        .address_space:  global
        .offset:         96
        .size:           8
        .value_kind:     global_buffer
    .group_segment_fixed_size: 0
    .kernarg_segment_align: 8
    .kernarg_segment_size: 104
    .language:       OpenCL C
    .language_version:
      - 2
      - 0
    .max_flat_workgroup_size: 198
    .name:           fft_rtc_back_len110_factors_2_5_11_wgs_198_tpt_11_half_op_CI_CI_unitstride_sbrr_R2C_dirReg
    .private_segment_fixed_size: 0
    .sgpr_count:     41
    .sgpr_spill_count: 0
    .symbol:         fft_rtc_back_len110_factors_2_5_11_wgs_198_tpt_11_half_op_CI_CI_unitstride_sbrr_R2C_dirReg.kd
    .uniform_work_group_size: 1
    .uses_dynamic_stack: false
    .vgpr_count:     131
    .vgpr_spill_count: 0
    .wavefront_size: 32
    .workgroup_processor_mode: 1
amdhsa.target:   amdgcn-amd-amdhsa--gfx1201
amdhsa.version:
  - 1
  - 2
...

	.end_amdgpu_metadata
